;; amdgpu-corpus repo=zjin-lcf/HeCBench kind=compiled arch=gfx1250 opt=O3
	.amdgcn_target "amdgcn-amd-amdhsa--gfx1250"
	.amdhsa_code_object_version 6
	.text
	.protected	_Z10run_solverPKdPKbS0_PdPbPKjiiiij ; -- Begin function _Z10run_solverPKdPKbS0_PdPbPKjiiiij
	.globl	_Z10run_solverPKdPKbS0_PdPbPKjiiiij
	.p2align	8
	.type	_Z10run_solverPKdPKbS0_PdPbPKjiiiij,@function
_Z10run_solverPKdPKbS0_PdPbPKjiiiij:    ; @_Z10run_solverPKdPKbS0_PdPbPKjiiiij
; %bb.0:
	s_clause 0x1
	s_load_b32 s2, s[0:1], 0x48
	s_load_b32 s3, s[0:1], 0x40
	s_bfe_u32 s5, ttmp6, 0x4000c
	s_bfe_u32 s6, ttmp6, 0x40010
	s_add_co_i32 s5, s5, 1
	s_add_co_i32 s6, s6, 1
	s_and_b32 s4, ttmp6, 15
	s_bfe_u32 s7, ttmp6, 0x40004
	s_mul_i32 s5, ttmp9, s5
	s_mul_i32 s6, ttmp7, s6
	s_getreg_b32 s8, hwreg(HW_REG_IB_STS2, 6, 4)
	s_add_co_i32 s4, s4, s5
	s_add_co_i32 s7, s7, s6
	s_cmp_eq_u32 s8, 0
	s_cselect_b32 s5, ttmp7, s7
	s_cselect_b32 s4, ttmp9, s4
	s_wait_kmcnt 0x0
	s_mul_i32 s2, s2, s5
	s_delay_alu instid0(SALU_CYCLE_1) | instskip(NEXT) | instid1(SALU_CYCLE_1)
	s_add_co_i32 s2, s2, s4
	s_cmp_ge_u32 s2, s3
	s_mov_b32 s3, 0
	s_cbranch_scc1 .LBB0_46
; %bb.1:
	s_clause 0x1
	s_load_b256 s[4:11], s[0:1], 0x20
	s_load_b256 s[12:19], s[0:1], 0x0
	v_bfe_u32 v9, v0, 10, 10
	v_bfe_u32 v7, v0, 20, 10
	v_and_b32_e32 v12, 0x3ff, v0
                                        ; implicit-def: $vgpr13
	s_delay_alu instid0(VALU_DEP_3) | instskip(SKIP_1) | instid1(VALU_DEP_3)
	v_lshlrev_b32_e32 v1, 2, v9
	v_mul_u32_u24_e32 v10, 48, v9
	v_mul_u32_u24_e32 v8, 0x120, v12
	s_delay_alu instid0(VALU_DEP_3) | instskip(NEXT) | instid1(VALU_DEP_3)
	v_lshl_add_u32 v11, v7, 4, v1
	v_mad_u32_u24 v6, 0x120, v12, v10
	s_delay_alu instid0(VALU_DEP_2) | instskip(NEXT) | instid1(VALU_DEP_2)
	v_add_nc_u32_e32 v4, v11, v12
	v_lshl_add_u32 v24, v7, 3, v6
	s_wait_kmcnt 0x0
	s_load_b32 s6, s[6:7], s2 offset:0x0 scale_offset
	s_ashr_i32 s0, s8, 31
	s_ashr_i32 s1, s9, 31
	s_lshr_b32 s0, s0, 30
	s_lshr_b32 s1, s1, 30
	s_add_co_i32 s0, s8, s0
	s_add_co_i32 s1, s9, s1
	s_ashr_i32 s8, s0, 2
	s_ashr_i32 s9, s1, 2
	s_cvt_f32_u32 s0, s8
	s_wait_xcnt 0x0
	s_cvt_f32_u32 s2, s9
	s_sub_co_i32 s1, 0, s8
	s_sub_co_i32 s20, 0, s9
	v_rcp_iflag_f32_e32 v1, s0
	v_nop
	s_delay_alu instid0(TRANS32_DEP_1)
	v_readfirstlane_b32 s0, v1
	s_wait_kmcnt 0x0
	s_lshl_b32 s7, s6, 6
	v_rcp_iflag_f32_e32 v1, s2
	v_add_nc_u32_e32 v0, s7, v4
	s_mul_f32 s0, s0, 0x4f7ffffe
	s_delay_alu instid0(TRANS32_DEP_1)
	v_readfirstlane_b32 s2, v1
	v_mov_b32_e32 v1, 0
	global_load_b64 v[2:3], v0, s[16:17] scale_offset
	s_cvt_u32_f32 s0, s0
	s_mul_f32 s2, s2, 0x4f7ffffe
	v_add_nc_u64_e32 v[14:15], s[14:15], v[0:1]
	v_lshl_add_u64 v[16:17], v[0:1], 3, s[12:13]
	s_mul_i32 s1, s1, s0
	s_mov_b32 s12, exec_lo
	s_mul_hi_u32 s1, s0, s1
	s_delay_alu instid0(SALU_CYCLE_1) | instskip(NEXT) | instid1(SALU_CYCLE_1)
	s_add_co_i32 s0, s0, s1
	s_mul_hi_u32 s0, s6, s0
	s_delay_alu instid0(SALU_CYCLE_1) | instskip(SKIP_2) | instid1(SALU_CYCLE_1)
	s_mul_i32 s1, s0, s8
	s_add_co_i32 s21, s0, 1
	s_sub_co_i32 s1, s6, s1
	s_sub_co_i32 s22, s1, s8
	s_cmp_ge_u32 s1, s8
	s_cselect_b32 s0, s21, s0
	s_cvt_u32_f32 s21, s2
	s_cselect_b32 s1, s22, s1
	s_add_co_i32 s2, s0, 1
	s_cmp_ge_u32 s1, s8
	s_mul_i32 s20, s20, s21
	s_cselect_b32 s2, s2, s0
	s_mul_hi_u32 s1, s21, s20
	s_delay_alu instid0(SALU_CYCLE_1) | instskip(SKIP_1) | instid1(SALU_CYCLE_1)
	s_add_co_i32 s0, s21, s1
	s_mov_b32 s1, s3
	s_mul_u64 s[0:1], s[2:3], s[0:1]
	s_mul_i32 s0, s2, s8
	s_delay_alu instid0(SALU_CYCLE_1)
	s_sub_co_i32 s0, s6, s0
	s_wait_loadcnt 0x0
	ds_store_b64 v24, v[2:3] offset:344
	global_load_b64 v[2:3], v[16:17], off
	global_load_u8 v5, v[14:15], off
	s_wait_xcnt 0x0
	v_cmpx_lt_i32_e32 2, v12
	s_xor_b32 s12, exec_lo, s12
	s_cbranch_execnz .LBB0_32
; %bb.2:
	s_or_saveexec_b32 s12, s12
	v_mov_b32_e32 v14, 0x5a0
	s_xor_b32 exec_lo, exec_lo, s12
	s_cbranch_execnz .LBB0_35
.LBB0_3:
	s_or_b32 exec_lo, exec_lo, s12
	s_and_saveexec_b32 s0, s3
	s_cbranch_execz .LBB0_5
.LBB0_4:
	global_load_b64 v[12:13], v13, s[16:17] scale_offset
	v_lshlrev_b32_e32 v11, 3, v7
	s_delay_alu instid0(VALU_DEP_1)
	v_add3_u32 v10, v14, v10, v11
	s_wait_loadcnt 0x0
	ds_store_b64 v10, v[12:13] offset:56
.LBB0_5:
	s_or_b32 exec_lo, exec_lo, s0
	s_mul_i32 s0, s1, s9
	s_add_co_i32 s3, s1, 1
	s_sub_co_i32 s0, s2, s0
                                        ; implicit-def: $vgpr10
	s_delay_alu instid0(SALU_CYCLE_1)
	s_sub_co_i32 s12, s0, s9
	s_cmp_ge_u32 s0, s9
	s_cselect_b32 s1, s3, s1
	s_cselect_b32 s0, s12, s0
	s_add_co_i32 s3, s1, 1
	s_cmp_ge_u32 s0, s9
	s_mov_b32 s12, exec_lo
	s_cselect_b32 s0, s3, s1
	s_mov_b32 s3, 0
	s_mul_i32 s1, s0, s9
	s_delay_alu instid0(SALU_CYCLE_1)
	s_sub_co_i32 s1, s2, s1
	v_cmpx_lt_i32_e32 2, v9
	s_xor_b32 s12, exec_lo, s12
	s_cbranch_execnz .LBB0_38
; %bb.6:
	s_or_saveexec_b32 s12, s12
	v_mov_b32_e32 v11, 0x210
	s_xor_b32 exec_lo, exec_lo, s12
	s_cbranch_execnz .LBB0_41
.LBB0_7:
	s_or_b32 exec_lo, exec_lo, s12
	s_and_saveexec_b32 s1, s3
	s_cbranch_execz .LBB0_9
.LBB0_8:
	global_load_b64 v[12:13], v10, s[16:17] scale_offset
	v_lshlrev_b32_e32 v9, 3, v7
	s_delay_alu instid0(VALU_DEP_1)
	v_add3_u32 v8, v8, v11, v9
	s_wait_loadcnt 0x0
	ds_store_b64 v8, v[12:13] offset:8
.LBB0_9:
	s_or_b32 exec_lo, exec_lo, s1
	s_delay_alu instid0(SALU_CYCLE_1)
	s_mov_b32 s1, exec_lo
	v_cmpx_lt_i32_e32 2, v7
	s_xor_b32 s1, exec_lo, s1
	s_cbranch_execz .LBB0_13
; %bb.10:
	s_mov_b32 s3, exec_lo
	v_cmpx_eq_u32_e32 3, v7
	s_cbranch_execz .LBB0_12
; %bb.11:
	s_ashr_i32 s12, s10, 31
	s_mul_i32 s13, s9, s8
	s_lshr_b32 s12, s12, 30
	v_subrev_nc_u32_e32 v7, 48, v4
	s_add_co_i32 s10, s10, s12
	s_add_co_i32 s12, s6, s13
	s_ashr_i32 s10, s10, 2
	s_lshl_b32 s12, s12, 6
	s_add_co_i32 s10, s10, -1
	s_delay_alu instid0(SALU_CYCLE_1)
	s_cmp_eq_u32 s0, s10
	s_cselect_b32 vcc_lo, -1, 0
	v_cndmask_b32_e32 v4, v7, v4, vcc_lo
	s_and_b32 s0, vcc_lo, exec_lo
	s_cselect_b32 s0, s7, s12
	s_delay_alu instid0(VALU_DEP_1) | instid1(SALU_CYCLE_1)
	v_add_nc_u32_e32 v4, s0, v4
	global_load_b64 v[8:9], v4, s[16:17] scale_offset
	s_wait_loadcnt 0x0
	ds_store_b64 v6, v[8:9] offset:376
.LBB0_12:
	s_or_b32 exec_lo, exec_lo, s3
                                        ; implicit-def: $vgpr7
                                        ; implicit-def: $vgpr4
                                        ; implicit-def: $vgpr6
.LBB0_13:
	s_and_not1_saveexec_b32 s0, s1
	s_cbranch_execz .LBB0_17
; %bb.14:
	s_mov_b32 s1, exec_lo
	v_cmpx_eq_u32_e32 0, v7
	s_cbranch_execz .LBB0_16
; %bb.15:
	s_mul_i32 s3, s9, s8
	s_delay_alu instid0(SALU_CYCLE_1) | instskip(NEXT) | instid1(SALU_CYCLE_1)
	s_sub_co_i32 s3, s6, s3
	s_lshl_b32 s3, s3, 6
	s_cmp_gt_u32 s9, s2
	s_cselect_b32 vcc_lo, -1, 0
	s_delay_alu instid0(SALU_CYCLE_1) | instskip(SKIP_2) | instid1(VALU_DEP_1)
	s_and_b32 s2, vcc_lo, exec_lo
	s_cselect_b32 s2, s7, s3
	v_add_nc_u32_e32 v7, 48, v4
	v_cndmask_b32_e32 v4, v7, v4, vcc_lo
	s_delay_alu instid0(VALU_DEP_1)
	v_add_nc_u32_e32 v4, s2, v4
	global_load_b64 v[8:9], v4, s[16:17] scale_offset
	s_wait_loadcnt 0x0
	ds_store_b64 v6, v[8:9] offset:336
.LBB0_16:
	s_or_b32 exec_lo, exec_lo, s1
.LBB0_17:
	s_delay_alu instid0(SALU_CYCLE_1)
	s_or_b32 exec_lo, exec_lo, s0
	s_cmp_lt_i32 s11, 1
	s_wait_loadcnt_dscnt 0x0
	s_barrier_signal -1
	s_barrier_wait -1
	s_cbranch_scc1 .LBB0_44
; %bb.18:
	v_div_scale_f64 v[6:7], null, v[2:3], v[2:3], 1.0
	v_div_scale_f64 v[12:13], vcc_lo, 1.0, v[2:3], 1.0
	v_and_b32_e32 v4, 1, v5
	s_delay_alu instid0(VALU_DEP_1) | instskip(NEXT) | instid1(VALU_DEP_4)
	v_cmp_eq_u32_e64 s0, 1, v4
	v_rcp_f64_e32 v[8:9], v[6:7]
	v_nop
	s_delay_alu instid0(TRANS32_DEP_1) | instskip(NEXT) | instid1(VALU_DEP_1)
	v_fma_f64 v[10:11], -v[6:7], v[8:9], 1.0
	v_fmac_f64_e32 v[8:9], v[8:9], v[10:11]
	s_delay_alu instid0(VALU_DEP_1) | instskip(NEXT) | instid1(VALU_DEP_1)
	v_fma_f64 v[10:11], -v[6:7], v[8:9], 1.0
	v_fmac_f64_e32 v[8:9], v[8:9], v[10:11]
	s_delay_alu instid0(VALU_DEP_1) | instskip(NEXT) | instid1(VALU_DEP_1)
	v_mul_f64_e32 v[10:11], v[12:13], v[8:9]
	v_fma_f64 v[6:7], -v[6:7], v[10:11], v[12:13]
	s_delay_alu instid0(VALU_DEP_1) | instskip(SKIP_1) | instid1(VALU_DEP_2)
	v_div_fmas_f64 v[6:7], v[6:7], v[8:9], v[10:11]
	v_cmp_lt_f64_e32 vcc_lo, 0, v[2:3]
	v_div_fixup_f64 v[6:7], v[6:7], v[2:3], 1.0
	s_delay_alu instid0(VALU_DEP_1) | instskip(NEXT) | instid1(VALU_DEP_1)
	v_dual_cndmask_b32 v3, v3, v7 :: v_dual_cndmask_b32 v2, v2, v6
	v_add_f64_e32 v[6:7], v[2:3], v[2:3]
	v_mul_f64_e32 v[8:9], 0x40080000, v[2:3]
	s_delay_alu instid0(VALU_DEP_2) | instskip(NEXT) | instid1(VALU_DEP_2)
	v_mul_f64_e32 v[6:7], v[2:3], v[6:7]
	v_mul_f64_e32 v[8:9], v[2:3], v[8:9]
	s_branch .LBB0_20
.LBB0_19:                               ;   in Loop: Header=BB0_20 Depth=1
	s_or_b32 exec_lo, exec_lo, s1
	s_add_co_i32 s11, s11, -1
	s_wait_dscnt 0x0
	s_cmp_eq_u32 s11, 0
	s_barrier_signal -1
	s_barrier_wait -1
	s_cbranch_scc1 .LBB0_45
.LBB0_20:                               ; =>This Inner Loop Header: Depth=1
	ds_load_b64 v[4:5], v24 offset:344
	s_wait_dscnt 0x0
	v_mov_b64_e32 v[10:11], v[4:5]
	s_and_saveexec_b32 s3, s0
	s_cbranch_execz .LBB0_30
; %bb.21:                               ;   in Loop: Header=BB0_20 Depth=1
	ds_load_2addr_b64 v[10:13], v24 offset0:49 offset1:79
	ds_load_2addr_b64 v[14:17], v24 offset0:7 offset1:37
	s_mov_b32 s6, exec_lo
	s_wait_dscnt 0x1
	v_max_num_f64_e32 v[18:19], v[12:13], v[12:13]
	s_wait_dscnt 0x0
	v_max_num_f64_e32 v[14:15], v[14:15], v[14:15]
	v_max_num_f64_e32 v[20:21], v[10:11], v[10:11]
	;; [unrolled: 1-line block ×3, first 2 shown]
	ds_load_2addr_b64 v[10:13], v24 offset0:42 offset1:44
	s_wait_dscnt 0x0
	v_max_num_f64_e32 v[12:13], v[12:13], v[12:13]
	v_max_num_f64_e32 v[10:11], v[10:11], v[10:11]
	v_min_num_f64_e32 v[14:15], v[14:15], v[18:19]
	v_min_num_f64_e32 v[16:17], v[16:17], v[20:21]
	s_delay_alu instid0(VALU_DEP_1) | instskip(NEXT) | instid1(VALU_DEP_4)
	v_cmp_lt_f64_e32 vcc_lo, v[14:15], v[16:17]
	v_min_num_f64_e32 v[20:21], v[10:11], v[12:13]
	v_mov_b64_e32 v[10:11], 0x4415af1d78b58c40
	v_dual_cndmask_b32 v23, v17, v15 :: v_dual_cndmask_b32 v22, v16, v14
	s_delay_alu instid0(VALU_DEP_1) | instskip(NEXT) | instid1(VALU_DEP_1)
	v_cmp_lt_f64_e64 s1, v[22:23], v[20:21]
	v_dual_cndmask_b32 v13, v21, v23, s1 :: v_dual_cndmask_b32 v12, v20, v22, s1
	s_delay_alu instid0(VALU_DEP_1)
	v_cmpx_lt_f64_e32 v[12:13], v[10:11]
	s_cbranch_execz .LBB0_29
; %bb.22:                               ;   in Loop: Header=BB0_20 Depth=1
	v_dual_cndmask_b32 v19, v15, v17 :: v_dual_cndmask_b32 v18, v14, v16
	v_dual_cndmask_b32 v21, v23, v21, s1 :: v_dual_cndmask_b32 v20, v22, v20, s1
	s_mov_b32 s7, exec_lo
	s_delay_alu instid0(VALU_DEP_1) | instskip(SKIP_2) | instid1(VALU_DEP_1)
	v_cmp_lt_f64_e32 vcc_lo, v[18:19], v[20:21]
	v_dual_add_f64 v[10:11], v[2:3], v[12:13] :: v_dual_cndmask_b32 v17, v21, v19, vcc_lo
	v_cndmask_b32_e32 v16, v20, v18, vcc_lo
	v_cmpx_gt_f64_e32 v[10:11], v[16:17]
	s_cbranch_execz .LBB0_28
; %bb.23:                               ;   in Loop: Header=BB0_20 Depth=1
	v_add_f64_e64 v[14:15], v[16:17], -v[12:13]
	s_mov_b32 s8, exec_lo
	s_delay_alu instid0(VALU_DEP_1) | instskip(NEXT) | instid1(VALU_DEP_1)
	v_fma_f64 v[14:15], -v[14:15], v[14:15], v[6:7]
	v_cvt_f32_f64_e32 v14, v[14:15]
	s_delay_alu instid0(VALU_DEP_1) | instskip(SKIP_1) | instid1(VALU_DEP_1)
	v_mul_f32_e32 v15, 0x4f800000, v14
	v_cmp_gt_f32_e64 s1, 0xf800000, v14
	v_cndmask_b32_e64 v14, v14, v15, s1
	s_delay_alu instid0(VALU_DEP_1) | instskip(SKIP_1) | instid1(TRANS32_DEP_1)
	v_sqrt_f32_e32 v15, v14
	v_nop
	v_dual_add_nc_u32 v22, -1, v15 :: v_dual_add_nc_u32 v23, 1, v15
	s_delay_alu instid0(VALU_DEP_1) | instskip(NEXT) | instid1(VALU_DEP_1)
	v_dual_fma_f32 v25, -v22, v15, v14 :: v_dual_fma_f32 v26, -v23, v15, v14
	v_cmp_ge_f32_e64 s2, 0, v25
	s_delay_alu instid0(VALU_DEP_1) | instskip(NEXT) | instid1(VALU_DEP_3)
	v_cndmask_b32_e64 v15, v15, v22, s2
	v_cmp_lt_f32_e64 s2, 0, v26
	s_delay_alu instid0(VALU_DEP_1) | instskip(NEXT) | instid1(VALU_DEP_1)
	v_cndmask_b32_e64 v15, v15, v23, s2
	v_mul_f32_e32 v22, 0x37800000, v15
	s_delay_alu instid0(VALU_DEP_1) | instskip(SKIP_1) | instid1(VALU_DEP_1)
	v_cndmask_b32_e64 v15, v15, v22, s1
	v_cmp_class_f32_e64 s1, v14, 0x260
	v_dual_add_f64 v[14:15], v[12:13], v[16:17] :: v_dual_cndmask_b32 v22, v15, v14, s1
	s_delay_alu instid0(VALU_DEP_1) | instskip(NEXT) | instid1(VALU_DEP_1)
	v_cvt_f64_f32_e32 v[22:23], v22
	v_add_f64_e32 v[14:15], v[14:15], v[22:23]
	s_delay_alu instid0(VALU_DEP_1) | instskip(SKIP_1) | instid1(VALU_DEP_2)
	v_dual_mul_f64 v[22:23], 0.5, v[14:15] :: v_dual_cndmask_b32 v15, v19, v21, vcc_lo
	v_cndmask_b32_e32 v14, v18, v20, vcc_lo
	v_cmp_gt_f64_e64 s1, v[22:23], v[16:17]
	s_delay_alu instid0(VALU_DEP_1) | instskip(NEXT) | instid1(VALU_DEP_1)
	v_dual_cndmask_b32 v11, v11, v23, s1 :: v_dual_cndmask_b32 v10, v10, v22, s1
	v_cmpx_gt_f64_e32 v[10:11], v[14:15]
	s_cbranch_execz .LBB0_27
; %bb.24:                               ;   in Loop: Header=BB0_20 Depth=1
	v_add_f64_e32 v[18:19], v[18:19], v[20:21]
	v_add_f64_e64 v[20:21], v[12:13], -v[16:17]
	v_add_f64_e64 v[26:27], v[16:17], -v[14:15]
	;; [unrolled: 1-line block ×3, first 2 shown]
	s_delay_alu instid0(VALU_DEP_4) | instskip(NEXT) | instid1(VALU_DEP_4)
	v_add_f64_e32 v[18:19], v[12:13], v[18:19]
	v_mul_f64_e32 v[16:17], v[16:17], v[20:21]
	s_delay_alu instid0(VALU_DEP_2) | instskip(NEXT) | instid1(VALU_DEP_2)
	v_div_scale_f64 v[22:23], null, 0x40080000, 0x40080000, v[18:19]
	v_fmac_f64_e32 v[16:17], v[14:15], v[26:27]
	s_delay_alu instid0(VALU_DEP_2) | instskip(NEXT) | instid1(VALU_DEP_1)
	v_rcp_f64_e32 v[20:21], v[22:23]
	v_fmac_f64_e32 v[16:17], v[12:13], v[28:29]
	s_delay_alu instid0(VALU_DEP_1) | instskip(NEXT) | instid1(TRANS32_DEP_1)
	v_fma_f64 v[12:13], 2.0, v[16:17], v[8:9]
	v_fma_f64 v[26:27], -v[22:23], v[20:21], 1.0
	s_delay_alu instid0(VALU_DEP_2) | instskip(NEXT) | instid1(VALU_DEP_2)
	v_cvt_f32_f64_e32 v25, v[12:13]
	v_fmac_f64_e32 v[20:21], v[20:21], v[26:27]
	s_delay_alu instid0(VALU_DEP_2) | instskip(NEXT) | instid1(VALU_DEP_2)
	v_cmp_gt_f32_e64 s1, 0xf800000, v25
	v_fma_f64 v[16:17], -v[22:23], v[20:21], 1.0
	s_delay_alu instid0(VALU_DEP_1) | instskip(SKIP_1) | instid1(VALU_DEP_1)
	v_fmac_f64_e32 v[20:21], v[20:21], v[16:17]
	v_mul_f32_e32 v16, 0x4f800000, v25
	v_cndmask_b32_e64 v25, v25, v16, s1
	s_delay_alu instid0(VALU_DEP_1) | instskip(SKIP_1) | instid1(TRANS32_DEP_1)
	v_sqrt_f32_e32 v26, v25
	v_nop
	v_dual_add_nc_u32 v27, -1, v26 :: v_dual_add_nc_u32 v28, 1, v26
	s_delay_alu instid0(VALU_DEP_1) | instskip(NEXT) | instid1(VALU_DEP_1)
	v_dual_fma_f32 v29, -v27, v26, v25 :: v_dual_fma_f32 v30, -v28, v26, v25
	v_cmp_ge_f32_e64 s2, 0, v29
	s_delay_alu instid0(VALU_DEP_1) | instskip(NEXT) | instid1(VALU_DEP_3)
	v_cndmask_b32_e64 v26, v26, v27, s2
	v_cmp_lt_f32_e64 s2, 0, v30
	s_delay_alu instid0(VALU_DEP_1) | instskip(SKIP_1) | instid1(VALU_DEP_2)
	v_cndmask_b32_e64 v26, v26, v28, s2
	v_div_scale_f64 v[12:13], vcc_lo, v[18:19], 0x40080000, v[18:19]
	v_mul_f32_e32 v27, 0x37800000, v26
	s_delay_alu instid0(VALU_DEP_2) | instskip(NEXT) | instid1(VALU_DEP_1)
	v_mul_f64_e32 v[16:17], v[12:13], v[20:21]
	v_fma_f64 v[12:13], -v[22:23], v[16:17], v[12:13]
	s_delay_alu instid0(VALU_DEP_3) | instskip(SKIP_1) | instid1(VALU_DEP_1)
	v_cndmask_b32_e64 v22, v26, v27, s1
	v_cmp_class_f32_e64 s1, v25, 0x260
	v_cndmask_b32_e64 v22, v22, v25, s1
	s_delay_alu instid0(VALU_DEP_1) | instskip(SKIP_1) | instid1(VALU_DEP_2)
	v_div_scale_f32 v23, null, 0x40400000, 0x40400000, v22
	v_div_scale_f32 v27, s1, v22, 0x40400000, v22
	v_rcp_f32_e32 v25, v23
	v_nop
	s_delay_alu instid0(TRANS32_DEP_1) | instskip(NEXT) | instid1(VALU_DEP_1)
	v_fma_f32 v26, -v23, v25, 1.0
	v_fmac_f32_e32 v25, v26, v25
	v_div_fmas_f64 v[12:13], v[12:13], v[20:21], v[16:17]
	s_mov_b32 vcc_lo, s1
	s_delay_alu instid0(VALU_DEP_2) | instskip(SKIP_1) | instid1(VALU_DEP_1)
	v_mul_f32_e32 v16, v27, v25
	s_mov_b32 s1, exec_lo
	v_fma_f32 v17, -v23, v16, v27
	s_delay_alu instid0(VALU_DEP_1) | instskip(NEXT) | instid1(VALU_DEP_1)
	v_fmac_f32_e32 v16, v17, v25
	v_fma_f32 v17, -v23, v16, v27
	s_delay_alu instid0(VALU_DEP_1) | instskip(NEXT) | instid1(VALU_DEP_1)
	v_div_fmas_f32 v16, v17, v25, v16
	v_div_fixup_f32 v16, v16, 0x40400000, v22
	s_delay_alu instid0(VALU_DEP_1) | instskip(SKIP_1) | instid1(VALU_DEP_1)
	v_cvt_f64_f32_e32 v[16:17], v16
	v_div_fixup_f64 v[12:13], v[12:13], 0x40080000, v[18:19]
	v_add_f64_e32 v[12:13], v[12:13], v[16:17]
	s_delay_alu instid0(VALU_DEP_1)
	v_cmpx_gt_f64_e32 v[12:13], v[14:15]
; %bb.25:                               ;   in Loop: Header=BB0_20 Depth=1
	v_mov_b64_e32 v[10:11], v[12:13]
; %bb.26:                               ;   in Loop: Header=BB0_20 Depth=1
	s_or_b32 exec_lo, exec_lo, s1
.LBB0_27:                               ;   in Loop: Header=BB0_20 Depth=1
	s_delay_alu instid0(SALU_CYCLE_1)
	s_or_b32 exec_lo, exec_lo, s8
.LBB0_28:                               ;   in Loop: Header=BB0_20 Depth=1
	s_delay_alu instid0(SALU_CYCLE_1)
	s_or_b32 exec_lo, exec_lo, s7
.LBB0_29:                               ;   in Loop: Header=BB0_20 Depth=1
	s_delay_alu instid0(SALU_CYCLE_1) | instskip(SKIP_1) | instid1(VALU_DEP_2)
	s_or_b32 exec_lo, exec_lo, s6
	v_max_num_f64_e32 v[12:13], v[4:5], v[4:5]
	v_max_num_f64_e32 v[10:11], v[10:11], v[10:11]
	s_delay_alu instid0(VALU_DEP_1)
	v_min_num_f64_e32 v[10:11], v[10:11], v[12:13]
.LBB0_30:                               ;   in Loop: Header=BB0_20 Depth=1
	s_or_b32 exec_lo, exec_lo, s3
	s_barrier_signal -1
	s_barrier_wait -1
	s_and_saveexec_b32 s1, s0
	s_cbranch_execz .LBB0_19
; %bb.31:                               ;   in Loop: Header=BB0_20 Depth=1
	ds_store_b64 v24, v[10:11] offset:344
	s_branch .LBB0_19
.LBB0_32:
	s_mov_b32 s13, exec_lo
                                        ; implicit-def: $vgpr13
	v_cmpx_eq_u32_e32 3, v12
; %bb.33:
	s_add_co_i32 s14, s8, -1
	v_add_nc_u32_e32 v11, -3, v4
	s_add_co_i32 s15, s7, 64
	s_cmp_eq_u32 s0, s14
	s_mov_b32 s3, exec_lo
	s_cselect_b32 vcc_lo, -1, 0
	v_cndmask_b32_e32 v11, v11, v4, vcc_lo
	s_and_b32 s14, vcc_lo, exec_lo
	s_cselect_b32 s14, s7, s15
	s_delay_alu instid0(VALU_DEP_1) | instid1(SALU_CYCLE_1)
	v_add_nc_u32_e32 v13, s14, v11
; %bb.34:
	s_or_b32 exec_lo, exec_lo, s13
	s_delay_alu instid0(SALU_CYCLE_1)
	s_and_b32 s3, s3, exec_lo
                                        ; implicit-def: $vgpr12
                                        ; implicit-def: $vgpr11
	s_or_saveexec_b32 s12, s12
	v_mov_b32_e32 v14, 0x5a0
	s_xor_b32 exec_lo, exec_lo, s12
	s_cbranch_execz .LBB0_3
.LBB0_35:
	s_mov_b32 s14, s3
	s_mov_b32 s13, exec_lo
                                        ; implicit-def: $vgpr13
	v_cmpx_eq_u32_e32 0, v12
; %bb.36:
	v_or_b32_e32 v11, 3, v11
	s_sub_co_i32 s14, s7, 64
	s_cmp_eq_u32 s0, 0
	s_cselect_b32 vcc_lo, -1, 0
	s_delay_alu instid0(VALU_DEP_1) | instskip(SKIP_3) | instid1(VALU_DEP_1)
	v_cndmask_b32_e32 v11, v11, v4, vcc_lo
	s_and_b32 s0, vcc_lo, exec_lo
	s_cselect_b32 s0, s7, s14
	s_or_b32 s14, s3, exec_lo
	v_add_nc_u32_e32 v13, s0, v11
; %bb.37:
	s_or_b32 exec_lo, exec_lo, s13
	v_mov_b32_e32 v14, 0
	s_and_not1_b32 s0, s3, exec_lo
	s_and_b32 s3, s14, exec_lo
	s_delay_alu instid0(SALU_CYCLE_1)
	s_or_b32 s3, s0, s3
	s_or_b32 exec_lo, exec_lo, s12
	s_and_saveexec_b32 s0, s3
	s_cbranch_execnz .LBB0_4
	s_branch .LBB0_5
.LBB0_38:
	s_mov_b32 s13, exec_lo
                                        ; implicit-def: $vgpr10
	v_cmpx_eq_u32_e32 3, v9
; %bb.39:
	s_add_co_i32 s15, s6, s8
	s_add_co_i32 s14, s9, -1
	v_add_nc_u32_e32 v9, -12, v4
	s_lshl_b32 s15, s15, 6
	s_cmp_eq_u32 s1, s14
	s_mov_b32 s3, exec_lo
	s_cselect_b32 vcc_lo, -1, 0
	v_cndmask_b32_e32 v9, v9, v4, vcc_lo
	s_and_b32 s14, vcc_lo, exec_lo
	s_cselect_b32 s14, s7, s15
	s_delay_alu instid0(VALU_DEP_1) | instid1(SALU_CYCLE_1)
	v_add_nc_u32_e32 v10, s14, v9
; %bb.40:
	s_or_b32 exec_lo, exec_lo, s13
	s_delay_alu instid0(SALU_CYCLE_1)
	s_and_b32 s3, s3, exec_lo
                                        ; implicit-def: $vgpr9
	s_or_saveexec_b32 s12, s12
	v_mov_b32_e32 v11, 0x210
	s_xor_b32 exec_lo, exec_lo, s12
	s_cbranch_execz .LBB0_7
.LBB0_41:
	s_mov_b32 s14, s3
	s_mov_b32 s13, exec_lo
                                        ; implicit-def: $vgpr10
	v_cmpx_eq_u32_e32 0, v9
; %bb.42:
	s_sub_co_i32 s14, s6, s8
	v_add_nc_u32_e32 v9, 12, v4
	s_lshl_b32 s14, s14, 6
	s_cmp_eq_u32 s1, 0
	s_cselect_b32 vcc_lo, -1, 0
	s_delay_alu instid0(VALU_DEP_1) | instskip(SKIP_3) | instid1(VALU_DEP_1)
	v_cndmask_b32_e32 v9, v9, v4, vcc_lo
	s_and_b32 s1, vcc_lo, exec_lo
	s_cselect_b32 s1, s7, s14
	s_or_b32 s14, s3, exec_lo
	v_add_nc_u32_e32 v10, s1, v9
; %bb.43:
	s_or_b32 exec_lo, exec_lo, s13
	v_mov_b32_e32 v11, 0x120
	s_and_not1_b32 s1, s3, exec_lo
	s_and_b32 s3, s14, exec_lo
	s_delay_alu instid0(SALU_CYCLE_1)
	s_or_b32 s3, s1, s3
	s_or_b32 exec_lo, exec_lo, s12
	s_and_saveexec_b32 s1, s3
	s_cbranch_execnz .LBB0_8
	s_branch .LBB0_9
.LBB0_44:
                                        ; implicit-def: $vgpr10_vgpr11
                                        ; implicit-def: $vgpr4_vgpr5
.LBB0_45:
	s_delay_alu instid0(VALU_DEP_1) | instskip(SKIP_3) | instid1(VALU_DEP_3)
	v_add_f64_e64 v[2:3], v[4:5], -v[10:11]
	s_mov_b64 s[0:1], 0x3c9cd2b297d889bc
	v_add_nc_u64_e32 v[4:5], s[4:5], v[0:1]
	v_lshl_add_u64 v[0:1], v[0:1], 3, s[18:19]
	v_cmp_gt_f64_e32 vcc_lo, s[0:1], v[2:3]
	v_cndmask_b32_e64 v2, 0, 1, vcc_lo
	global_store_b8 v[4:5], v2, off
	global_store_b64 v[0:1], v[10:11], off
.LBB0_46:
	s_endpgm
	.section	.rodata,"a",@progbits
	.p2align	6, 0x0
	.amdhsa_kernel _Z10run_solverPKdPKbS0_PdPbPKjiiiij
		.amdhsa_group_segment_fixed_size 1728
		.amdhsa_private_segment_fixed_size 0
		.amdhsa_kernarg_size 328
		.amdhsa_user_sgpr_count 2
		.amdhsa_user_sgpr_dispatch_ptr 0
		.amdhsa_user_sgpr_queue_ptr 0
		.amdhsa_user_sgpr_kernarg_segment_ptr 1
		.amdhsa_user_sgpr_dispatch_id 0
		.amdhsa_user_sgpr_kernarg_preload_length 0
		.amdhsa_user_sgpr_kernarg_preload_offset 0
		.amdhsa_user_sgpr_private_segment_size 0
		.amdhsa_wavefront_size32 1
		.amdhsa_uses_dynamic_stack 0
		.amdhsa_enable_private_segment 0
		.amdhsa_system_sgpr_workgroup_id_x 1
		.amdhsa_system_sgpr_workgroup_id_y 1
		.amdhsa_system_sgpr_workgroup_id_z 0
		.amdhsa_system_sgpr_workgroup_info 0
		.amdhsa_system_vgpr_workitem_id 2
		.amdhsa_next_free_vgpr 31
		.amdhsa_next_free_sgpr 23
		.amdhsa_named_barrier_count 0
		.amdhsa_reserve_vcc 1
		.amdhsa_float_round_mode_32 0
		.amdhsa_float_round_mode_16_64 0
		.amdhsa_float_denorm_mode_32 3
		.amdhsa_float_denorm_mode_16_64 3
		.amdhsa_fp16_overflow 0
		.amdhsa_memory_ordered 1
		.amdhsa_forward_progress 1
		.amdhsa_inst_pref_size 21
		.amdhsa_round_robin_scheduling 0
		.amdhsa_exception_fp_ieee_invalid_op 0
		.amdhsa_exception_fp_denorm_src 0
		.amdhsa_exception_fp_ieee_div_zero 0
		.amdhsa_exception_fp_ieee_overflow 0
		.amdhsa_exception_fp_ieee_underflow 0
		.amdhsa_exception_fp_ieee_inexact 0
		.amdhsa_exception_int_div_zero 0
	.end_amdhsa_kernel
	.text
.Lfunc_end0:
	.size	_Z10run_solverPKdPKbS0_PdPbPKjiiiij, .Lfunc_end0-_Z10run_solverPKdPKbS0_PdPbPKjiiiij
                                        ; -- End function
	.set _Z10run_solverPKdPKbS0_PdPbPKjiiiij.num_vgpr, 31
	.set _Z10run_solverPKdPKbS0_PdPbPKjiiiij.num_agpr, 0
	.set _Z10run_solverPKdPKbS0_PdPbPKjiiiij.numbered_sgpr, 23
	.set _Z10run_solverPKdPKbS0_PdPbPKjiiiij.num_named_barrier, 0
	.set _Z10run_solverPKdPKbS0_PdPbPKjiiiij.private_seg_size, 0
	.set _Z10run_solverPKdPKbS0_PdPbPKjiiiij.uses_vcc, 1
	.set _Z10run_solverPKdPKbS0_PdPbPKjiiiij.uses_flat_scratch, 0
	.set _Z10run_solverPKdPKbS0_PdPbPKjiiiij.has_dyn_sized_stack, 0
	.set _Z10run_solverPKdPKbS0_PdPbPKjiiiij.has_recursion, 0
	.set _Z10run_solverPKdPKbS0_PdPbPKjiiiij.has_indirect_call, 0
	.section	.AMDGPU.csdata,"",@progbits
; Kernel info:
; codeLenInByte = 2640
; TotalNumSgprs: 25
; NumVgprs: 31
; ScratchSize: 0
; MemoryBound: 0
; FloatMode: 240
; IeeeMode: 1
; LDSByteSize: 1728 bytes/workgroup (compile time only)
; SGPRBlocks: 0
; VGPRBlocks: 1
; NumSGPRsForWavesPerEU: 25
; NumVGPRsForWavesPerEU: 31
; NamedBarCnt: 0
; Occupancy: 16
; WaveLimiterHint : 1
; COMPUTE_PGM_RSRC2:SCRATCH_EN: 0
; COMPUTE_PGM_RSRC2:USER_SGPR: 2
; COMPUTE_PGM_RSRC2:TRAP_HANDLER: 0
; COMPUTE_PGM_RSRC2:TGID_X_EN: 1
; COMPUTE_PGM_RSRC2:TGID_Y_EN: 1
; COMPUTE_PGM_RSRC2:TGID_Z_EN: 0
; COMPUTE_PGM_RSRC2:TIDIG_COMP_CNT: 2
	.text
	.protected	_Z13run_reductionPKbPbPKjj ; -- Begin function _Z13run_reductionPKbPbPKjj
	.globl	_Z13run_reductionPKbPbPKjj
	.p2align	8
	.type	_Z13run_reductionPKbPbPKjj,@function
_Z13run_reductionPKbPbPKjj:             ; @_Z13run_reductionPKbPbPKjj
; %bb.0:
	s_clause 0x1
	s_load_b32 s2, s[0:1], 0x20
	s_load_b32 s3, s[0:1], 0x18
	s_bfe_u32 s5, ttmp6, 0x4000c
	s_bfe_u32 s6, ttmp6, 0x40010
	s_add_co_i32 s5, s5, 1
	s_add_co_i32 s6, s6, 1
	s_and_b32 s4, ttmp6, 15
	s_bfe_u32 s7, ttmp6, 0x40004
	s_mul_i32 s5, ttmp9, s5
	s_mul_i32 s6, ttmp7, s6
	s_getreg_b32 s8, hwreg(HW_REG_IB_STS2, 6, 4)
	s_add_co_i32 s4, s4, s5
	s_add_co_i32 s7, s7, s6
	s_cmp_eq_u32 s8, 0
	s_cselect_b32 s5, ttmp7, s7
	s_cselect_b32 s4, ttmp9, s4
	s_wait_kmcnt 0x0
	s_mul_i32 s2, s2, s5
	s_delay_alu instid0(SALU_CYCLE_1) | instskip(NEXT) | instid1(SALU_CYCLE_1)
	s_add_co_i32 s2, s2, s4
	s_cmp_ge_u32 s2, s3
	s_cbranch_scc1 .LBB1_15
; %bb.1:
	s_load_b64 s[4:5], s[0:1], 0x10
	v_dual_lshrrev_b32 v1, 16, v0 :: v_dual_lshrrev_b32 v2, 8, v0
	v_and_b32_e32 v0, 0x3ff, v0
	s_mov_b32 s3, exec_lo
	s_delay_alu instid0(VALU_DEP_2) | instskip(NEXT) | instid1(VALU_DEP_3)
	v_and_b32_e32 v1, 0x3ff0, v1
	v_and_b32_e32 v2, 0xffc, v2
	s_delay_alu instid0(VALU_DEP_1)
	v_add3_u32 v0, v2, v0, v1
	s_wait_kmcnt 0x0
	s_load_b32 s2, s[4:5], s2 offset:0x0 scale_offset
	s_wait_xcnt 0x0
	s_load_b64 s[4:5], s[0:1], 0x0
	s_wait_kmcnt 0x0
	v_lshl_add_u32 v1, s2, 6, v0
	s_delay_alu instid0(VALU_DEP_1)
	v_add_nc_u32_e32 v2, 32, v1
	s_clause 0x1
	global_load_u8 v3, v1, s[4:5]
	global_load_u8 v4, v2, s[4:5]
	s_wait_loadcnt 0x1
	ds_store_b8 v0, v3
	s_wait_loadcnt 0x0
	ds_store_b8 v0, v4 offset:32
	s_wait_dscnt 0x0
	s_barrier_signal -1
	s_barrier_wait -1
	v_cmpx_gt_u32_e32 32, v0
	s_cbranch_execz .LBB1_3
; %bb.2:
	ds_load_u8 v1, v0
	ds_load_u8 v2, v0 offset:32
	s_wait_dscnt 0x0
	v_and_b32_e32 v1, v2, v1
	ds_store_b8 v0, v1
.LBB1_3:
	s_or_b32 exec_lo, exec_lo, s3
	s_delay_alu instid0(SALU_CYCLE_1)
	s_mov_b32 s3, exec_lo
	s_wait_dscnt 0x0
	s_barrier_signal -1
	s_barrier_wait -1
	v_cmpx_gt_u32_e32 16, v0
	s_cbranch_execz .LBB1_5
; %bb.4:
	ds_load_u8 v1, v0
	ds_load_u8 v2, v0 offset:16
	s_wait_dscnt 0x0
	v_and_b32_e32 v1, v2, v1
	ds_store_b8 v0, v1
.LBB1_5:
	s_or_b32 exec_lo, exec_lo, s3
	s_delay_alu instid0(SALU_CYCLE_1)
	s_mov_b32 s3, exec_lo
	;; [unrolled: 15-line block ×4, first 2 shown]
	s_wait_dscnt 0x0
	s_barrier_signal -1
	s_barrier_wait -1
	v_cmpx_gt_u32_e32 2, v0
	s_cbranch_execz .LBB1_11
; %bb.10:
	ds_load_u8 v1, v0
	ds_load_u8 v2, v0 offset:2
	s_wait_dscnt 0x0
	v_and_b32_e32 v1, v2, v1
	ds_store_b8 v0, v1
.LBB1_11:
	s_or_b32 exec_lo, exec_lo, s3
	v_cmp_eq_u32_e32 vcc_lo, 0, v0
	s_wait_dscnt 0x0
	s_barrier_signal -1
	s_barrier_wait -1
	s_and_saveexec_b32 s3, vcc_lo
	s_cbranch_execz .LBB1_13
; %bb.12:
	ds_load_u8 v1, v0
	ds_load_u8 v2, v0 offset:1
	s_wait_dscnt 0x0
	v_and_b32_e32 v1, v2, v1
	ds_store_b8 v0, v1
.LBB1_13:
	s_or_b32 exec_lo, exec_lo, s3
	s_wait_dscnt 0x0
	s_barrier_signal -1
	s_barrier_wait -1
	s_and_saveexec_b32 s3, vcc_lo
	s_cbranch_execz .LBB1_15
; %bb.14:
	v_dual_mov_b32 v0, 0 :: v_dual_mov_b32 v1, s2
	s_load_b64 s[0:1], s[0:1], 0x8
	ds_load_u8 v0, v0
	s_wait_dscnt 0x0
	v_and_b32_e32 v0, 1, v0
	s_delay_alu instid0(VALU_DEP_1) | instskip(SKIP_1) | instid1(SALU_CYCLE_1)
	v_cmp_eq_u32_e32 vcc_lo, 1, v0
	s_xor_b32 s3, vcc_lo, -1
	v_cndmask_b32_e64 v0, 0, 1, s3
	s_wait_kmcnt 0x0
	global_store_b8 v1, v0, s[0:1]
.LBB1_15:
	s_endpgm
	.section	.rodata,"a",@progbits
	.p2align	6, 0x0
	.amdhsa_kernel _Z13run_reductionPKbPbPKjj
		.amdhsa_group_segment_fixed_size 64
		.amdhsa_private_segment_fixed_size 0
		.amdhsa_kernarg_size 288
		.amdhsa_user_sgpr_count 2
		.amdhsa_user_sgpr_dispatch_ptr 0
		.amdhsa_user_sgpr_queue_ptr 0
		.amdhsa_user_sgpr_kernarg_segment_ptr 1
		.amdhsa_user_sgpr_dispatch_id 0
		.amdhsa_user_sgpr_kernarg_preload_length 0
		.amdhsa_user_sgpr_kernarg_preload_offset 0
		.amdhsa_user_sgpr_private_segment_size 0
		.amdhsa_wavefront_size32 1
		.amdhsa_uses_dynamic_stack 0
		.amdhsa_enable_private_segment 0
		.amdhsa_system_sgpr_workgroup_id_x 1
		.amdhsa_system_sgpr_workgroup_id_y 1
		.amdhsa_system_sgpr_workgroup_id_z 0
		.amdhsa_system_sgpr_workgroup_info 0
		.amdhsa_system_vgpr_workitem_id 2
		.amdhsa_next_free_vgpr 5
		.amdhsa_next_free_sgpr 9
		.amdhsa_named_barrier_count 0
		.amdhsa_reserve_vcc 1
		.amdhsa_float_round_mode_32 0
		.amdhsa_float_round_mode_16_64 0
		.amdhsa_float_denorm_mode_32 3
		.amdhsa_float_denorm_mode_16_64 3
		.amdhsa_fp16_overflow 0
		.amdhsa_memory_ordered 1
		.amdhsa_forward_progress 1
		.amdhsa_inst_pref_size 6
		.amdhsa_round_robin_scheduling 0
		.amdhsa_exception_fp_ieee_invalid_op 0
		.amdhsa_exception_fp_denorm_src 0
		.amdhsa_exception_fp_ieee_div_zero 0
		.amdhsa_exception_fp_ieee_overflow 0
		.amdhsa_exception_fp_ieee_underflow 0
		.amdhsa_exception_fp_ieee_inexact 0
		.amdhsa_exception_int_div_zero 0
	.end_amdhsa_kernel
	.text
.Lfunc_end1:
	.size	_Z13run_reductionPKbPbPKjj, .Lfunc_end1-_Z13run_reductionPKbPbPKjj
                                        ; -- End function
	.set _Z13run_reductionPKbPbPKjj.num_vgpr, 5
	.set _Z13run_reductionPKbPbPKjj.num_agpr, 0
	.set _Z13run_reductionPKbPbPKjj.numbered_sgpr, 9
	.set _Z13run_reductionPKbPbPKjj.num_named_barrier, 0
	.set _Z13run_reductionPKbPbPKjj.private_seg_size, 0
	.set _Z13run_reductionPKbPbPKjj.uses_vcc, 1
	.set _Z13run_reductionPKbPbPKjj.uses_flat_scratch, 0
	.set _Z13run_reductionPKbPbPKjj.has_dyn_sized_stack, 0
	.set _Z13run_reductionPKbPbPKjj.has_recursion, 0
	.set _Z13run_reductionPKbPbPKjj.has_indirect_call, 0
	.section	.AMDGPU.csdata,"",@progbits
; Kernel info:
; codeLenInByte = 736
; TotalNumSgprs: 11
; NumVgprs: 5
; ScratchSize: 0
; MemoryBound: 0
; FloatMode: 240
; IeeeMode: 1
; LDSByteSize: 64 bytes/workgroup (compile time only)
; SGPRBlocks: 0
; VGPRBlocks: 0
; NumSGPRsForWavesPerEU: 11
; NumVGPRsForWavesPerEU: 5
; NamedBarCnt: 0
; Occupancy: 16
; WaveLimiterHint : 1
; COMPUTE_PGM_RSRC2:SCRATCH_EN: 0
; COMPUTE_PGM_RSRC2:USER_SGPR: 2
; COMPUTE_PGM_RSRC2:TRAP_HANDLER: 0
; COMPUTE_PGM_RSRC2:TGID_X_EN: 1
; COMPUTE_PGM_RSRC2:TGID_Y_EN: 1
; COMPUTE_PGM_RSRC2:TGID_Z_EN: 0
; COMPUTE_PGM_RSRC2:TIDIG_COMP_CNT: 2
	.text
	.protected	_Z18run_check_neighborPKdPKbS0_PdPbPKjiiijj ; -- Begin function _Z18run_check_neighborPKdPKbS0_PdPbPKjiiijj
	.globl	_Z18run_check_neighborPKdPKbS0_PdPbPKjiiijj
	.p2align	8
	.type	_Z18run_check_neighborPKdPKbS0_PdPbPKjiiijj,@function
_Z18run_check_neighborPKdPKbS0_PdPbPKjiiijj: ; @_Z18run_check_neighborPKdPKbS0_PdPbPKjiiijj
; %bb.0:
	s_clause 0x1
	s_load_b32 s2, s[0:1], 0x48
	s_load_b32 s3, s[0:1], 0x40
	s_bfe_u32 s5, ttmp6, 0x4000c
	s_bfe_u32 s6, ttmp6, 0x40010
	s_add_co_i32 s5, s5, 1
	s_add_co_i32 s6, s6, 1
	s_and_b32 s4, ttmp6, 15
	s_bfe_u32 s7, ttmp6, 0x40004
	s_mul_i32 s5, ttmp9, s5
	s_mul_i32 s6, ttmp7, s6
	s_getreg_b32 s8, hwreg(HW_REG_IB_STS2, 6, 4)
	s_add_co_i32 s4, s4, s5
	s_add_co_i32 s7, s7, s6
	s_cmp_eq_u32 s8, 0
	s_cselect_b32 s5, ttmp7, s7
	s_cselect_b32 s4, ttmp9, s4
	s_wait_kmcnt 0x0
	s_mul_i32 s2, s2, s5
	s_delay_alu instid0(SALU_CYCLE_1) | instskip(NEXT) | instid1(SALU_CYCLE_1)
	s_add_co_i32 s2, s2, s4
	s_cmp_ge_u32 s2, s3
	s_cbranch_scc1 .LBB2_31
; %bb.1:
	s_load_b64 s[4:5], s[0:1], 0x28
	v_bfe_u32 v9, v0, 10, 10
	v_bfe_u32 v5, v0, 20, 10
	v_and_b32_e32 v12, 0x3ff, v0
	s_delay_alu instid0(VALU_DEP_3) | instskip(NEXT) | instid1(VALU_DEP_1)
	v_lshlrev_b32_e32 v1, 2, v9
	v_lshl_add_u32 v11, v5, 4, v1
	s_delay_alu instid0(VALU_DEP_1)
	v_add_nc_u32_e32 v4, v11, v12
	s_wait_kmcnt 0x0
	s_load_b32 s16, s[4:5], s2 offset:0x0 scale_offset
	s_load_b128 s[8:11], s[0:1], 0x30
	s_wait_xcnt 0x0
	s_load_b128 s[4:7], s[0:1], 0x10
	s_wait_kmcnt 0x0
	s_lshl_b32 s17, s16, 6
	s_cmp_ge_u32 s2, s11
	v_add_nc_u32_e32 v0, s17, v4
	s_mov_b32 s2, -1
	s_cbranch_scc0 .LBB2_29
; %bb.2:
	global_load_b64 v[2:3], v0, s[4:5] scale_offset
	s_ashr_i32 s2, s8, 31
	s_ashr_i32 s3, s9, 31
	s_lshr_b32 s2, s2, 30
	s_lshr_b32 s3, s3, 30
	s_add_co_i32 s2, s8, s2
	s_add_co_i32 s3, s9, s3
	s_ashr_i32 s11, s2, 2
	s_ashr_i32 s18, s3, 2
	s_cvt_f32_u32 s2, s11
	s_cvt_f32_u32 s8, s18
	v_mul_u32_u24_e32 v13, 48, v9
	s_sub_co_i32 s3, 0, s11
	v_rcp_iflag_f32_e32 v1, s2
	v_mul_u32_u24_e32 v10, 0x120, v12
	s_delay_alu instid0(VALU_DEP_2) | instskip(NEXT) | instid1(TRANS32_DEP_1)
	v_mad_u32_u24 v6, 0x120, v12, v13
	v_readfirstlane_b32 s2, v1
	v_rcp_iflag_f32_e32 v1, s8
	s_clause 0x1
	s_load_b128 s[12:15], s[0:1], 0x0
	s_load_b64 s[8:9], s[0:1], 0x20
	v_lshl_add_u32 v8, v5, 3, v6
	s_mul_f32 s2, s2, 0x4f7ffffe
	s_wait_xcnt 0x0
	v_readfirstlane_b32 s1, v1
	v_mov_b32_e32 v1, 0
	s_cvt_u32_f32 s2, s2
	s_mul_f32 s21, s1, 0x4f7ffffe
	s_delay_alu instid0(SALU_CYCLE_2) | instskip(SKIP_2) | instid1(SALU_CYCLE_1)
	s_mul_i32 s3, s3, s2
	s_mov_b32 s1, 0
	s_mul_hi_u32 s3, s2, s3
	s_add_co_i32 s2, s2, s3
	s_sub_co_i32 s3, 0, s18
	s_mul_hi_u32 s2, s16, s2
	s_wait_kmcnt 0x0
	v_add_nc_u64_e32 v[14:15], s[14:15], v[0:1]
	v_lshl_add_u64 v[16:17], v[0:1], 3, s[12:13]
	s_mul_i32 s0, s2, s11
	s_add_co_i32 s19, s2, 1
	s_sub_co_i32 s0, s16, s0
	s_mov_b32 s12, exec_lo
	s_sub_co_i32 s20, s0, s11
	s_cmp_ge_u32 s0, s11
	s_cselect_b32 s2, s19, s2
	s_cvt_u32_f32 s19, s21
	s_cselect_b32 s0, s20, s0
	s_add_co_i32 s20, s2, 1
	s_cmp_ge_u32 s0, s11
	s_mul_i32 s3, s3, s19
	s_cselect_b32 s0, s20, s2
	s_mul_hi_u32 s3, s19, s3
	s_delay_alu instid0(SALU_CYCLE_1) | instskip(SKIP_1) | instid1(SALU_CYCLE_1)
	s_add_co_i32 s2, s19, s3
	s_mov_b32 s3, s1
	s_mul_u64 s[2:3], s[0:1], s[2:3]
	s_mul_i32 s2, s0, s11
	s_delay_alu instid0(SALU_CYCLE_1)
	s_sub_co_i32 s2, s16, s2
	s_wait_loadcnt 0x0
	ds_store_b64 v8, v[2:3] offset:344
	global_load_b64 v[2:3], v[16:17], off
	global_load_u8 v7, v[14:15], off
                                        ; implicit-def: $vgpr14
	s_wait_xcnt 0x0
	v_cmpx_lt_i32_e32 2, v12
	s_xor_b32 s12, exec_lo, s12
	s_cbranch_execnz .LBB2_32
; %bb.3:
	s_or_saveexec_b32 s12, s12
	v_mov_b32_e32 v15, 0x5a0
	s_xor_b32 exec_lo, exec_lo, s12
	s_cbranch_execnz .LBB2_35
.LBB2_4:
	s_or_b32 exec_lo, exec_lo, s12
	v_lshlrev_b32_e32 v11, 3, v5
	s_and_saveexec_b32 s2, s1
	s_cbranch_execz .LBB2_6
.LBB2_5:
	global_load_b64 v[16:17], v14, s[4:5] scale_offset
	v_add3_u32 v12, v15, v13, v11
	s_wait_loadcnt 0x0
	ds_store_b64 v12, v[16:17] offset:56
.LBB2_6:
	s_or_b32 exec_lo, exec_lo, s2
	s_mul_i32 s1, s3, s18
	s_add_co_i32 s2, s3, 1
	s_sub_co_i32 s1, s0, s1
                                        ; implicit-def: $vgpr12
	s_delay_alu instid0(SALU_CYCLE_1)
	s_sub_co_i32 s12, s1, s18
	s_cmp_ge_u32 s1, s18
	s_cselect_b32 s2, s2, s3
	s_cselect_b32 s1, s12, s1
	s_add_co_i32 s3, s2, 1
	s_cmp_ge_u32 s1, s18
	s_mov_b32 s12, exec_lo
	s_cselect_b32 s1, s3, s2
	s_mov_b32 s3, 0
	s_mul_i32 s2, s1, s18
	s_delay_alu instid0(SALU_CYCLE_1)
	s_sub_co_i32 s2, s0, s2
	v_cmpx_lt_i32_e32 2, v9
	s_xor_b32 s12, exec_lo, s12
	s_cbranch_execnz .LBB2_38
; %bb.7:
	s_or_saveexec_b32 s12, s12
	v_mov_b32_e32 v13, 0x210
	s_xor_b32 exec_lo, exec_lo, s12
	s_cbranch_execnz .LBB2_41
.LBB2_8:
	s_or_b32 exec_lo, exec_lo, s12
	s_and_saveexec_b32 s2, s3
	s_cbranch_execz .LBB2_10
.LBB2_9:
	global_load_b64 v[14:15], v12, s[4:5] scale_offset
	v_add3_u32 v9, v10, v13, v11
	s_wait_loadcnt 0x0
	ds_store_b64 v9, v[14:15] offset:8
.LBB2_10:
	s_or_b32 exec_lo, exec_lo, s2
	s_delay_alu instid0(SALU_CYCLE_1)
	s_mov_b32 s2, exec_lo
	v_cmpx_lt_i32_e32 2, v5
	s_xor_b32 s2, exec_lo, s2
	s_cbranch_execz .LBB2_14
; %bb.11:
	s_mov_b32 s3, exec_lo
	v_cmpx_eq_u32_e32 3, v5
	s_cbranch_execz .LBB2_13
; %bb.12:
	s_ashr_i32 s12, s10, 31
	s_mul_i32 s13, s18, s11
	s_lshr_b32 s12, s12, 30
	v_subrev_nc_u32_e32 v5, 48, v4
	s_add_co_i32 s10, s10, s12
	s_add_co_i32 s12, s16, s13
	s_ashr_i32 s10, s10, 2
	s_lshl_b32 s12, s12, 6
	s_add_co_i32 s10, s10, -1
	s_delay_alu instid0(SALU_CYCLE_1)
	s_cmp_eq_u32 s1, s10
	s_cselect_b32 vcc_lo, -1, 0
	v_cndmask_b32_e32 v4, v5, v4, vcc_lo
	s_and_b32 s1, vcc_lo, exec_lo
	s_cselect_b32 s1, s17, s12
	s_delay_alu instid0(VALU_DEP_1) | instid1(SALU_CYCLE_1)
	v_add_nc_u32_e32 v4, s1, v4
	global_load_b64 v[4:5], v4, s[4:5] scale_offset
	s_wait_loadcnt 0x0
	ds_store_b64 v6, v[4:5] offset:376
.LBB2_13:
	s_or_b32 exec_lo, exec_lo, s3
                                        ; implicit-def: $vgpr5
                                        ; implicit-def: $vgpr4
                                        ; implicit-def: $vgpr6
.LBB2_14:
	s_and_not1_saveexec_b32 s1, s2
	s_cbranch_execz .LBB2_18
; %bb.15:
	s_mov_b32 s2, exec_lo
	v_cmpx_eq_u32_e32 0, v5
	s_cbranch_execz .LBB2_17
; %bb.16:
	s_mul_i32 s3, s18, s11
	s_delay_alu instid0(SALU_CYCLE_1) | instskip(NEXT) | instid1(SALU_CYCLE_1)
	s_sub_co_i32 s3, s16, s3
	s_lshl_b32 s3, s3, 6
	s_cmp_gt_u32 s18, s0
	s_cselect_b32 vcc_lo, -1, 0
	s_delay_alu instid0(SALU_CYCLE_1) | instskip(SKIP_2) | instid1(VALU_DEP_1)
	s_and_b32 s0, vcc_lo, exec_lo
	s_cselect_b32 s0, s17, s3
	v_add_nc_u32_e32 v5, 48, v4
	v_cndmask_b32_e32 v4, v5, v4, vcc_lo
	s_delay_alu instid0(VALU_DEP_1)
	v_add_nc_u32_e32 v4, s0, v4
	global_load_b64 v[4:5], v4, s[4:5] scale_offset
	s_wait_loadcnt 0x0
	ds_store_b64 v6, v[4:5] offset:336
.LBB2_17:
	s_or_b32 exec_lo, exec_lo, s2
.LBB2_18:
	s_delay_alu instid0(SALU_CYCLE_1)
	s_or_b32 exec_lo, exec_lo, s1
	s_wait_loadcnt_dscnt 0x0
	s_barrier_signal -1
	s_barrier_wait -1
	ds_load_b64 v[4:5], v8 offset:344
	v_and_b32_e32 v6, 1, v7
	s_delay_alu instid0(VALU_DEP_1)
	v_cmp_eq_u32_e32 vcc_lo, 1, v6
	s_wait_dscnt 0x0
	v_mov_b64_e32 v[6:7], v[4:5]
	s_and_saveexec_b32 s3, vcc_lo
	s_cbranch_execz .LBB2_28
; %bb.19:
	ds_load_2addr_b64 v[10:13], v8 offset0:49 offset1:79
	ds_load_2addr_b64 v[14:17], v8 offset0:7 offset1:37
	;; [unrolled: 1-line block ×3, first 2 shown]
	s_mov_b32 s10, exec_lo
	s_wait_dscnt 0x2
	v_max_num_f64_e32 v[12:13], v[12:13], v[12:13]
	s_wait_dscnt 0x1
	v_max_num_f64_e32 v[14:15], v[14:15], v[14:15]
	v_max_num_f64_e32 v[18:19], v[10:11], v[10:11]
	;; [unrolled: 1-line block ×3, first 2 shown]
	s_wait_dscnt 0x0
	v_max_num_f64_e32 v[8:9], v[8:9], v[8:9]
	v_max_num_f64_e32 v[6:7], v[6:7], v[6:7]
	v_min_num_f64_e32 v[10:11], v[14:15], v[12:13]
	s_delay_alu instid0(VALU_DEP_4) | instskip(NEXT) | instid1(VALU_DEP_1)
	v_min_num_f64_e32 v[12:13], v[16:17], v[18:19]
	v_cmp_lt_f64_e64 s0, v[10:11], v[12:13]
	s_delay_alu instid0(VALU_DEP_4) | instskip(SKIP_1) | instid1(VALU_DEP_3)
	v_min_num_f64_e32 v[16:17], v[6:7], v[8:9]
	v_mov_b64_e32 v[6:7], 0x4415af1d78b58c40
	v_dual_cndmask_b32 v19, v13, v11, s0 :: v_dual_cndmask_b32 v18, v12, v10, s0
	s_delay_alu instid0(VALU_DEP_1) | instskip(NEXT) | instid1(VALU_DEP_1)
	v_cmp_lt_f64_e64 s1, v[18:19], v[16:17]
	v_dual_cndmask_b32 v9, v17, v19, s1 :: v_dual_cndmask_b32 v8, v16, v18, s1
	s_delay_alu instid0(VALU_DEP_1)
	v_cmpx_lt_f64_e32 v[8:9], v[6:7]
	s_cbranch_execz .LBB2_27
; %bb.20:
	v_div_scale_f64 v[6:7], null, v[2:3], v[2:3], 1.0
	v_div_scale_f64 v[22:23], vcc_lo, 1.0, v[2:3], 1.0
	v_dual_cndmask_b32 v17, v19, v17, s1 :: v_dual_cndmask_b32 v16, v18, v16, s1
	v_cmp_lt_f64_e64 s2, 0, v[2:3]
	s_delay_alu instid0(VALU_DEP_4) | instskip(SKIP_1) | instid1(TRANS32_DEP_1)
	v_rcp_f64_e32 v[14:15], v[6:7]
	v_nop
	v_fma_f64 v[20:21], -v[6:7], v[14:15], 1.0
	s_delay_alu instid0(VALU_DEP_1) | instskip(NEXT) | instid1(VALU_DEP_1)
	v_fmac_f64_e32 v[14:15], v[14:15], v[20:21]
	v_fma_f64 v[20:21], -v[6:7], v[14:15], 1.0
	s_delay_alu instid0(VALU_DEP_1) | instskip(NEXT) | instid1(VALU_DEP_1)
	v_fmac_f64_e32 v[14:15], v[14:15], v[20:21]
	v_mul_f64_e32 v[20:21], v[22:23], v[14:15]
	s_delay_alu instid0(VALU_DEP_1) | instskip(NEXT) | instid1(VALU_DEP_1)
	v_fma_f64 v[6:7], -v[6:7], v[20:21], v[22:23]
	v_div_fmas_f64 v[6:7], v[6:7], v[14:15], v[20:21]
	v_dual_cndmask_b32 v15, v11, v13, s0 :: v_dual_cndmask_b32 v14, v10, v12, s0
	s_delay_alu instid0(VALU_DEP_1) | instskip(NEXT) | instid1(VALU_DEP_3)
	v_cmp_lt_f64_e32 vcc_lo, v[14:15], v[16:17]
	v_div_fixup_f64 v[6:7], v[6:7], v[2:3], 1.0
	v_dual_cndmask_b32 v13, v17, v15 :: v_dual_cndmask_b32 v12, v16, v14
	s_delay_alu instid0(VALU_DEP_2) | instskip(SKIP_1) | instid1(VALU_DEP_1)
	v_dual_cndmask_b32 v3, v3, v7, s2 :: v_dual_cndmask_b32 v2, v2, v6, s2
	s_mov_b32 s2, exec_lo
	v_add_f64_e32 v[6:7], v[2:3], v[8:9]
	s_delay_alu instid0(VALU_DEP_1)
	v_cmpx_gt_f64_e32 v[6:7], v[12:13]
	s_cbranch_execz .LBB2_26
; %bb.21:
	v_add_f64_e64 v[10:11], v[12:13], -v[8:9]
	v_add_f64_e32 v[18:19], v[2:3], v[2:3]
	s_mov_b32 s11, exec_lo
	s_delay_alu instid0(VALU_DEP_2) | instskip(NEXT) | instid1(VALU_DEP_1)
	v_mul_f64_e32 v[10:11], v[10:11], v[10:11]
	v_fma_f64 v[10:11], v[2:3], v[18:19], -v[10:11]
	s_delay_alu instid0(VALU_DEP_1) | instskip(NEXT) | instid1(VALU_DEP_1)
	v_cvt_f32_f64_e32 v10, v[10:11]
	v_mul_f32_e32 v11, 0x4f800000, v10
	v_cmp_gt_f32_e64 s0, 0xf800000, v10
	s_delay_alu instid0(VALU_DEP_1) | instskip(NEXT) | instid1(VALU_DEP_1)
	v_cndmask_b32_e64 v10, v10, v11, s0
	v_sqrt_f32_e32 v11, v10
	v_nop
	s_delay_alu instid0(TRANS32_DEP_1) | instskip(NEXT) | instid1(VALU_DEP_1)
	v_dual_add_nc_u32 v18, -1, v11 :: v_dual_add_nc_u32 v19, 1, v11
	v_dual_fma_f32 v20, -v18, v11, v10 :: v_dual_fma_f32 v21, -v19, v11, v10
	s_delay_alu instid0(VALU_DEP_1) | instskip(NEXT) | instid1(VALU_DEP_1)
	v_cmp_ge_f32_e64 s1, 0, v20
	v_cndmask_b32_e64 v11, v11, v18, s1
	s_delay_alu instid0(VALU_DEP_3) | instskip(NEXT) | instid1(VALU_DEP_1)
	v_cmp_lt_f32_e64 s1, 0, v21
	v_cndmask_b32_e64 v11, v11, v19, s1
	s_delay_alu instid0(VALU_DEP_1) | instskip(NEXT) | instid1(VALU_DEP_1)
	v_mul_f32_e32 v18, 0x37800000, v11
	v_cndmask_b32_e64 v11, v11, v18, s0
	v_cmp_class_f32_e64 s0, v10, 0x260
	s_delay_alu instid0(VALU_DEP_1) | instskip(NEXT) | instid1(VALU_DEP_1)
	v_dual_add_f64 v[10:11], v[8:9], v[12:13] :: v_dual_cndmask_b32 v18, v11, v10, s0
	v_cvt_f64_f32_e32 v[18:19], v18
	s_delay_alu instid0(VALU_DEP_1) | instskip(NEXT) | instid1(VALU_DEP_1)
	v_add_f64_e32 v[10:11], v[10:11], v[18:19]
	v_dual_mul_f64 v[18:19], 0.5, v[10:11] :: v_dual_cndmask_b32 v11, v15, v17, vcc_lo
	v_cndmask_b32_e32 v10, v14, v16, vcc_lo
	s_delay_alu instid0(VALU_DEP_2) | instskip(NEXT) | instid1(VALU_DEP_1)
	v_cmp_gt_f64_e64 s0, v[18:19], v[12:13]
	v_dual_cndmask_b32 v7, v7, v19, s0 :: v_dual_cndmask_b32 v6, v6, v18, s0
	s_delay_alu instid0(VALU_DEP_1)
	v_cmpx_gt_f64_e32 v[6:7], v[10:11]
	s_cbranch_execz .LBB2_25
; %bb.22:
	v_add_f64_e32 v[14:15], v[14:15], v[16:17]
	v_add_f64_e64 v[16:17], v[8:9], -v[12:13]
	v_add_f64_e64 v[18:19], v[12:13], -v[10:11]
	;; [unrolled: 1-line block ×3, first 2 shown]
	s_delay_alu instid0(VALU_DEP_4) | instskip(NEXT) | instid1(VALU_DEP_4)
	v_add_f64_e32 v[14:15], v[8:9], v[14:15]
	v_mul_f64_e32 v[12:13], v[12:13], v[16:17]
	s_delay_alu instid0(VALU_DEP_2) | instskip(NEXT) | instid1(VALU_DEP_2)
	v_div_scale_f64 v[16:17], null, 0x40080000, 0x40080000, v[14:15]
	v_fmac_f64_e32 v[12:13], v[10:11], v[18:19]
	s_delay_alu instid0(VALU_DEP_2) | instskip(NEXT) | instid1(VALU_DEP_1)
	v_rcp_f64_e32 v[18:19], v[16:17]
	v_fmac_f64_e32 v[12:13], v[8:9], v[20:21]
	v_mul_f64_e32 v[20:21], 0x40080000, v[2:3]
	s_delay_alu instid0(VALU_DEP_2) | instskip(NEXT) | instid1(TRANS32_DEP_1)
	v_add_f64_e32 v[12:13], v[12:13], v[12:13]
	v_fma_f64 v[8:9], -v[16:17], v[18:19], 1.0
	s_delay_alu instid0(VALU_DEP_2) | instskip(NEXT) | instid1(VALU_DEP_2)
	v_fmac_f64_e32 v[12:13], v[2:3], v[20:21]
	v_fmac_f64_e32 v[18:19], v[18:19], v[8:9]
	s_delay_alu instid0(VALU_DEP_2) | instskip(NEXT) | instid1(VALU_DEP_2)
	v_cvt_f32_f64_e32 v12, v[12:13]
	v_fma_f64 v[2:3], -v[16:17], v[18:19], 1.0
	s_delay_alu instid0(VALU_DEP_2) | instskip(NEXT) | instid1(VALU_DEP_2)
	v_cmp_gt_f32_e64 s0, 0xf800000, v12
	v_fmac_f64_e32 v[18:19], v[18:19], v[2:3]
	v_mul_f32_e32 v2, 0x4f800000, v12
	s_delay_alu instid0(VALU_DEP_1) | instskip(NEXT) | instid1(VALU_DEP_1)
	v_cndmask_b32_e64 v12, v12, v2, s0
	v_sqrt_f32_e32 v13, v12
	v_nop
	s_delay_alu instid0(TRANS32_DEP_1) | instskip(SKIP_1) | instid1(VALU_DEP_2)
	v_add_nc_u32_e32 v20, -1, v13
	v_div_scale_f64 v[8:9], vcc_lo, v[14:15], 0x40080000, v[14:15]
	v_dual_add_nc_u32 v21, 1, v13 :: v_dual_fma_f32 v22, -v20, v13, v12
	s_delay_alu instid0(VALU_DEP_1) | instskip(NEXT) | instid1(VALU_DEP_2)
	v_fma_f32 v23, -v21, v13, v12
	v_cmp_ge_f32_e64 s1, 0, v22
	s_delay_alu instid0(VALU_DEP_1) | instskip(NEXT) | instid1(VALU_DEP_3)
	v_cndmask_b32_e64 v13, v13, v20, s1
	v_cmp_lt_f32_e64 s1, 0, v23
	s_delay_alu instid0(VALU_DEP_1) | instskip(NEXT) | instid1(VALU_DEP_1)
	v_cndmask_b32_e64 v13, v13, v21, s1
	v_mul_f32_e32 v20, 0x37800000, v13
	s_delay_alu instid0(VALU_DEP_1) | instskip(SKIP_2) | instid1(VALU_DEP_2)
	v_cndmask_b32_e64 v13, v13, v20, s0
	v_cmp_class_f32_e64 s0, v12, 0x260
	v_mul_f64_e32 v[2:3], v[8:9], v[18:19]
	v_cndmask_b32_e64 v12, v13, v12, s0
	s_delay_alu instid0(VALU_DEP_1) | instskip(SKIP_1) | instid1(VALU_DEP_4)
	v_div_scale_f32 v13, null, 0x40400000, 0x40400000, v12
	v_div_scale_f32 v20, s0, v12, 0x40400000, v12
	v_fma_f64 v[8:9], -v[16:17], v[2:3], v[8:9]
	s_delay_alu instid0(VALU_DEP_3) | instskip(SKIP_1) | instid1(TRANS32_DEP_1)
	v_rcp_f32_e32 v16, v13
	v_nop
	v_fma_f32 v17, -v13, v16, 1.0
	s_delay_alu instid0(VALU_DEP_1) | instskip(NEXT) | instid1(VALU_DEP_4)
	v_fmac_f32_e32 v16, v17, v16
	v_div_fmas_f64 v[2:3], v[8:9], v[18:19], v[2:3]
	s_delay_alu instid0(VALU_DEP_2) | instskip(SKIP_2) | instid1(VALU_DEP_1)
	v_mul_f32_e32 v8, v20, v16
	s_mov_b32 vcc_lo, s0
	s_mov_b32 s0, exec_lo
	v_fma_f32 v9, -v13, v8, v20
	s_delay_alu instid0(VALU_DEP_1) | instskip(NEXT) | instid1(VALU_DEP_1)
	v_fmac_f32_e32 v8, v9, v16
	v_fma_f32 v9, -v13, v8, v20
	s_delay_alu instid0(VALU_DEP_1) | instskip(NEXT) | instid1(VALU_DEP_1)
	v_div_fmas_f32 v8, v9, v16, v8
	v_div_fixup_f32 v8, v8, 0x40400000, v12
	s_delay_alu instid0(VALU_DEP_1) | instskip(SKIP_1) | instid1(VALU_DEP_1)
	v_cvt_f64_f32_e32 v[8:9], v8
	v_div_fixup_f64 v[2:3], v[2:3], 0x40080000, v[14:15]
	v_add_f64_e32 v[2:3], v[2:3], v[8:9]
	s_delay_alu instid0(VALU_DEP_1)
	v_cmpx_gt_f64_e32 v[2:3], v[10:11]
; %bb.23:
	v_mov_b64_e32 v[6:7], v[2:3]
; %bb.24:
	s_or_b32 exec_lo, exec_lo, s0
.LBB2_25:
	s_delay_alu instid0(SALU_CYCLE_1)
	s_or_b32 exec_lo, exec_lo, s11
.LBB2_26:
	s_delay_alu instid0(SALU_CYCLE_1)
	s_or_b32 exec_lo, exec_lo, s2
.LBB2_27:
	s_delay_alu instid0(SALU_CYCLE_1) | instskip(SKIP_1) | instid1(VALU_DEP_2)
	s_or_b32 exec_lo, exec_lo, s10
	v_max_num_f64_e32 v[2:3], v[4:5], v[4:5]
	v_max_num_f64_e32 v[6:7], v[6:7], v[6:7]
	s_delay_alu instid0(VALU_DEP_1)
	v_min_num_f64_e32 v[6:7], v[6:7], v[2:3]
	v_lshl_add_u64 v[2:3], v[0:1], 3, s[6:7]
	global_store_b64 v[2:3], v[6:7], off
.LBB2_28:
	s_wait_xcnt 0x0
	s_or_b32 exec_lo, exec_lo, s3
	s_delay_alu instid0(VALU_DEP_1) | instskip(SKIP_3) | instid1(VALU_DEP_2)
	v_add_f64_e64 v[2:3], v[4:5], -v[6:7]
	s_mov_b64 s[0:1], 0x3c9cd2b297d889bc
	v_add_nc_u64_e32 v[4:5], s[8:9], v[0:1]
	s_mov_b32 s2, 0
	v_cmp_gt_f64_e32 vcc_lo, s[0:1], v[2:3]
	v_cndmask_b32_e64 v1, 0, 1, vcc_lo
	global_store_b8 v[4:5], v1, off
.LBB2_29:
	s_and_b32 vcc_lo, exec_lo, s2
	s_cbranch_vccz .LBB2_31
; %bb.30:
	global_load_b64 v[2:3], v0, s[4:5] scale_offset
	s_wait_loadcnt 0x0
	global_store_b64 v0, v[2:3], s[6:7] scale_offset
.LBB2_31:
	s_endpgm
.LBB2_32:
	s_mov_b32 s13, exec_lo
                                        ; implicit-def: $vgpr14
	v_cmpx_eq_u32_e32 3, v12
; %bb.33:
	s_add_co_i32 s14, s11, -1
	v_add_nc_u32_e32 v11, -3, v4
	s_add_co_i32 s15, s17, 64
	s_cmp_eq_u32 s2, s14
	s_mov_b32 s1, exec_lo
	s_cselect_b32 vcc_lo, -1, 0
	v_cndmask_b32_e32 v11, v11, v4, vcc_lo
	s_and_b32 s14, vcc_lo, exec_lo
	s_cselect_b32 s14, s17, s15
	s_delay_alu instid0(VALU_DEP_1) | instid1(SALU_CYCLE_1)
	v_add_nc_u32_e32 v14, s14, v11
; %bb.34:
	s_or_b32 exec_lo, exec_lo, s13
	s_delay_alu instid0(SALU_CYCLE_1)
	s_and_b32 s1, s1, exec_lo
                                        ; implicit-def: $vgpr12
                                        ; implicit-def: $vgpr11
	s_or_saveexec_b32 s12, s12
	v_mov_b32_e32 v15, 0x5a0
	s_xor_b32 exec_lo, exec_lo, s12
	s_cbranch_execz .LBB2_4
.LBB2_35:
	s_mov_b32 s14, s1
	s_mov_b32 s13, exec_lo
                                        ; implicit-def: $vgpr14
	v_cmpx_eq_u32_e32 0, v12
; %bb.36:
	v_or_b32_e32 v11, 3, v11
	s_sub_co_i32 s14, s17, 64
	s_cmp_eq_u32 s2, 0
	s_cselect_b32 vcc_lo, -1, 0
	s_delay_alu instid0(VALU_DEP_1) | instskip(SKIP_3) | instid1(VALU_DEP_1)
	v_cndmask_b32_e32 v11, v11, v4, vcc_lo
	s_and_b32 s2, vcc_lo, exec_lo
	s_cselect_b32 s2, s17, s14
	s_or_b32 s14, s1, exec_lo
	v_add_nc_u32_e32 v14, s2, v11
; %bb.37:
	s_or_b32 exec_lo, exec_lo, s13
	v_mov_b32_e32 v15, 0
	s_and_not1_b32 s1, s1, exec_lo
	s_and_b32 s2, s14, exec_lo
	s_delay_alu instid0(SALU_CYCLE_1)
	s_or_b32 s1, s1, s2
	s_or_b32 exec_lo, exec_lo, s12
	v_lshlrev_b32_e32 v11, 3, v5
	s_and_saveexec_b32 s2, s1
	s_cbranch_execnz .LBB2_5
	s_branch .LBB2_6
.LBB2_38:
	s_mov_b32 s13, exec_lo
                                        ; implicit-def: $vgpr12
	v_cmpx_eq_u32_e32 3, v9
; %bb.39:
	s_add_co_i32 s15, s16, s11
	s_add_co_i32 s14, s18, -1
	v_add_nc_u32_e32 v9, -12, v4
	s_lshl_b32 s15, s15, 6
	s_cmp_eq_u32 s2, s14
	s_mov_b32 s3, exec_lo
	s_cselect_b32 vcc_lo, -1, 0
	v_cndmask_b32_e32 v9, v9, v4, vcc_lo
	s_and_b32 s14, vcc_lo, exec_lo
	s_cselect_b32 s14, s17, s15
	s_delay_alu instid0(VALU_DEP_1) | instid1(SALU_CYCLE_1)
	v_add_nc_u32_e32 v12, s14, v9
; %bb.40:
	s_or_b32 exec_lo, exec_lo, s13
	s_delay_alu instid0(SALU_CYCLE_1)
	s_and_b32 s3, s3, exec_lo
                                        ; implicit-def: $vgpr9
	s_or_saveexec_b32 s12, s12
	v_mov_b32_e32 v13, 0x210
	s_xor_b32 exec_lo, exec_lo, s12
	s_cbranch_execz .LBB2_8
.LBB2_41:
	s_mov_b32 s14, s3
	s_mov_b32 s13, exec_lo
                                        ; implicit-def: $vgpr12
	v_cmpx_eq_u32_e32 0, v9
; %bb.42:
	s_sub_co_i32 s14, s16, s11
	v_add_nc_u32_e32 v9, 12, v4
	s_lshl_b32 s14, s14, 6
	s_cmp_eq_u32 s2, 0
	s_cselect_b32 vcc_lo, -1, 0
	s_delay_alu instid0(VALU_DEP_1) | instskip(SKIP_3) | instid1(VALU_DEP_1)
	v_cndmask_b32_e32 v9, v9, v4, vcc_lo
	s_and_b32 s2, vcc_lo, exec_lo
	s_cselect_b32 s2, s17, s14
	s_or_b32 s14, s3, exec_lo
	v_add_nc_u32_e32 v12, s2, v9
; %bb.43:
	s_or_b32 exec_lo, exec_lo, s13
	v_mov_b32_e32 v13, 0x120
	s_and_not1_b32 s2, s3, exec_lo
	s_and_b32 s3, s14, exec_lo
	s_delay_alu instid0(SALU_CYCLE_1)
	s_or_b32 s3, s2, s3
	s_or_b32 exec_lo, exec_lo, s12
	s_and_saveexec_b32 s2, s3
	s_cbranch_execnz .LBB2_9
	s_branch .LBB2_10
	.section	.rodata,"a",@progbits
	.p2align	6, 0x0
	.amdhsa_kernel _Z18run_check_neighborPKdPKbS0_PdPbPKjiiijj
		.amdhsa_group_segment_fixed_size 1728
		.amdhsa_private_segment_fixed_size 0
		.amdhsa_kernarg_size 328
		.amdhsa_user_sgpr_count 2
		.amdhsa_user_sgpr_dispatch_ptr 0
		.amdhsa_user_sgpr_queue_ptr 0
		.amdhsa_user_sgpr_kernarg_segment_ptr 1
		.amdhsa_user_sgpr_dispatch_id 0
		.amdhsa_user_sgpr_kernarg_preload_length 0
		.amdhsa_user_sgpr_kernarg_preload_offset 0
		.amdhsa_user_sgpr_private_segment_size 0
		.amdhsa_wavefront_size32 1
		.amdhsa_uses_dynamic_stack 0
		.amdhsa_enable_private_segment 0
		.amdhsa_system_sgpr_workgroup_id_x 1
		.amdhsa_system_sgpr_workgroup_id_y 1
		.amdhsa_system_sgpr_workgroup_id_z 0
		.amdhsa_system_sgpr_workgroup_info 0
		.amdhsa_system_vgpr_workitem_id 2
		.amdhsa_next_free_vgpr 24
		.amdhsa_next_free_sgpr 22
		.amdhsa_named_barrier_count 0
		.amdhsa_reserve_vcc 1
		.amdhsa_float_round_mode_32 0
		.amdhsa_float_round_mode_16_64 0
		.amdhsa_float_denorm_mode_32 3
		.amdhsa_float_denorm_mode_16_64 3
		.amdhsa_fp16_overflow 0
		.amdhsa_memory_ordered 1
		.amdhsa_forward_progress 1
		.amdhsa_inst_pref_size 21
		.amdhsa_round_robin_scheduling 0
		.amdhsa_exception_fp_ieee_invalid_op 0
		.amdhsa_exception_fp_denorm_src 0
		.amdhsa_exception_fp_ieee_div_zero 0
		.amdhsa_exception_fp_ieee_overflow 0
		.amdhsa_exception_fp_ieee_underflow 0
		.amdhsa_exception_fp_ieee_inexact 0
		.amdhsa_exception_int_div_zero 0
	.end_amdhsa_kernel
	.text
.Lfunc_end2:
	.size	_Z18run_check_neighborPKdPKbS0_PdPbPKjiiijj, .Lfunc_end2-_Z18run_check_neighborPKdPKbS0_PdPbPKjiiijj
                                        ; -- End function
	.set _Z18run_check_neighborPKdPKbS0_PdPbPKjiiijj.num_vgpr, 24
	.set _Z18run_check_neighborPKdPKbS0_PdPbPKjiiijj.num_agpr, 0
	.set _Z18run_check_neighborPKdPKbS0_PdPbPKjiiijj.numbered_sgpr, 22
	.set _Z18run_check_neighborPKdPKbS0_PdPbPKjiiijj.num_named_barrier, 0
	.set _Z18run_check_neighborPKdPKbS0_PdPbPKjiiijj.private_seg_size, 0
	.set _Z18run_check_neighborPKdPKbS0_PdPbPKjiiijj.uses_vcc, 1
	.set _Z18run_check_neighborPKdPKbS0_PdPbPKjiiijj.uses_flat_scratch, 0
	.set _Z18run_check_neighborPKdPKbS0_PdPbPKjiiijj.has_dyn_sized_stack, 0
	.set _Z18run_check_neighborPKdPKbS0_PdPbPKjiiijj.has_recursion, 0
	.set _Z18run_check_neighborPKdPKbS0_PdPbPKjiiijj.has_indirect_call, 0
	.section	.AMDGPU.csdata,"",@progbits
; Kernel info:
; codeLenInByte = 2656
; TotalNumSgprs: 24
; NumVgprs: 24
; ScratchSize: 0
; MemoryBound: 0
; FloatMode: 240
; IeeeMode: 1
; LDSByteSize: 1728 bytes/workgroup (compile time only)
; SGPRBlocks: 0
; VGPRBlocks: 1
; NumSGPRsForWavesPerEU: 24
; NumVGPRsForWavesPerEU: 24
; NamedBarCnt: 0
; Occupancy: 16
; WaveLimiterHint : 1
; COMPUTE_PGM_RSRC2:SCRATCH_EN: 0
; COMPUTE_PGM_RSRC2:USER_SGPR: 2
; COMPUTE_PGM_RSRC2:TRAP_HANDLER: 0
; COMPUTE_PGM_RSRC2:TGID_X_EN: 1
; COMPUTE_PGM_RSRC2:TGID_Y_EN: 1
; COMPUTE_PGM_RSRC2:TGID_Z_EN: 0
; COMPUTE_PGM_RSRC2:TIDIG_COMP_CNT: 2
	.text
	.p2alignl 7, 3214868480
	.fill 96, 4, 3214868480
	.section	.AMDGPU.gpr_maximums,"",@progbits
	.set amdgpu.max_num_vgpr, 0
	.set amdgpu.max_num_agpr, 0
	.set amdgpu.max_num_sgpr, 0
	.text
	.type	__hip_cuid_aba4b475efa52847,@object ; @__hip_cuid_aba4b475efa52847
	.section	.bss,"aw",@nobits
	.globl	__hip_cuid_aba4b475efa52847
__hip_cuid_aba4b475efa52847:
	.byte	0                               ; 0x0
	.size	__hip_cuid_aba4b475efa52847, 1

	.ident	"AMD clang version 22.0.0git (https://github.com/RadeonOpenCompute/llvm-project roc-7.2.4 26084 f58b06dce1f9c15707c5f808fd002e18c2accf7e)"
	.section	".note.GNU-stack","",@progbits
	.addrsig
	.addrsig_sym __hip_cuid_aba4b475efa52847
	.amdgpu_metadata
---
amdhsa.kernels:
  - .args:
      - .actual_access:  read_only
        .address_space:  global
        .offset:         0
        .size:           8
        .value_kind:     global_buffer
      - .actual_access:  read_only
        .address_space:  global
        .offset:         8
        .size:           8
        .value_kind:     global_buffer
      - .actual_access:  read_only
        .address_space:  global
        .offset:         16
        .size:           8
        .value_kind:     global_buffer
      - .actual_access:  write_only
        .address_space:  global
        .offset:         24
        .size:           8
        .value_kind:     global_buffer
      - .actual_access:  write_only
        .address_space:  global
        .offset:         32
        .size:           8
        .value_kind:     global_buffer
      - .actual_access:  read_only
        .address_space:  global
        .offset:         40
        .size:           8
        .value_kind:     global_buffer
      - .offset:         48
        .size:           4
        .value_kind:     by_value
      - .offset:         52
        .size:           4
        .value_kind:     by_value
      - .offset:         56
        .size:           4
        .value_kind:     by_value
      - .offset:         60
        .size:           4
        .value_kind:     by_value
      - .offset:         64
        .size:           4
        .value_kind:     by_value
      - .offset:         72
        .size:           4
        .value_kind:     hidden_block_count_x
      - .offset:         76
        .size:           4
        .value_kind:     hidden_block_count_y
      - .offset:         80
        .size:           4
        .value_kind:     hidden_block_count_z
      - .offset:         84
        .size:           2
        .value_kind:     hidden_group_size_x
      - .offset:         86
        .size:           2
        .value_kind:     hidden_group_size_y
      - .offset:         88
        .size:           2
        .value_kind:     hidden_group_size_z
      - .offset:         90
        .size:           2
        .value_kind:     hidden_remainder_x
      - .offset:         92
        .size:           2
        .value_kind:     hidden_remainder_y
      - .offset:         94
        .size:           2
        .value_kind:     hidden_remainder_z
      - .offset:         112
        .size:           8
        .value_kind:     hidden_global_offset_x
      - .offset:         120
        .size:           8
        .value_kind:     hidden_global_offset_y
      - .offset:         128
        .size:           8
        .value_kind:     hidden_global_offset_z
      - .offset:         136
        .size:           2
        .value_kind:     hidden_grid_dims
    .group_segment_fixed_size: 1728
    .kernarg_segment_align: 8
    .kernarg_segment_size: 328
    .language:       OpenCL C
    .language_version:
      - 2
      - 0
    .max_flat_workgroup_size: 1024
    .name:           _Z10run_solverPKdPKbS0_PdPbPKjiiiij
    .private_segment_fixed_size: 0
    .sgpr_count:     25
    .sgpr_spill_count: 0
    .symbol:         _Z10run_solverPKdPKbS0_PdPbPKjiiiij.kd
    .uniform_work_group_size: 1
    .uses_dynamic_stack: false
    .vgpr_count:     31
    .vgpr_spill_count: 0
    .wavefront_size: 32
  - .args:
      - .actual_access:  read_only
        .address_space:  global
        .offset:         0
        .size:           8
        .value_kind:     global_buffer
      - .actual_access:  write_only
        .address_space:  global
        .offset:         8
        .size:           8
        .value_kind:     global_buffer
      - .actual_access:  read_only
        .address_space:  global
        .offset:         16
        .size:           8
        .value_kind:     global_buffer
      - .offset:         24
        .size:           4
        .value_kind:     by_value
      - .offset:         32
        .size:           4
        .value_kind:     hidden_block_count_x
      - .offset:         36
        .size:           4
        .value_kind:     hidden_block_count_y
      - .offset:         40
        .size:           4
        .value_kind:     hidden_block_count_z
      - .offset:         44
        .size:           2
        .value_kind:     hidden_group_size_x
      - .offset:         46
        .size:           2
        .value_kind:     hidden_group_size_y
      - .offset:         48
        .size:           2
        .value_kind:     hidden_group_size_z
      - .offset:         50
        .size:           2
        .value_kind:     hidden_remainder_x
      - .offset:         52
        .size:           2
        .value_kind:     hidden_remainder_y
      - .offset:         54
        .size:           2
        .value_kind:     hidden_remainder_z
      - .offset:         72
        .size:           8
        .value_kind:     hidden_global_offset_x
      - .offset:         80
        .size:           8
        .value_kind:     hidden_global_offset_y
      - .offset:         88
        .size:           8
        .value_kind:     hidden_global_offset_z
      - .offset:         96
        .size:           2
        .value_kind:     hidden_grid_dims
    .group_segment_fixed_size: 64
    .kernarg_segment_align: 8
    .kernarg_segment_size: 288
    .language:       OpenCL C
    .language_version:
      - 2
      - 0
    .max_flat_workgroup_size: 1024
    .name:           _Z13run_reductionPKbPbPKjj
    .private_segment_fixed_size: 0
    .sgpr_count:     11
    .sgpr_spill_count: 0
    .symbol:         _Z13run_reductionPKbPbPKjj.kd
    .uniform_work_group_size: 1
    .uses_dynamic_stack: false
    .vgpr_count:     5
    .vgpr_spill_count: 0
    .wavefront_size: 32
  - .args:
      - .actual_access:  read_only
        .address_space:  global
        .offset:         0
        .size:           8
        .value_kind:     global_buffer
      - .actual_access:  read_only
        .address_space:  global
        .offset:         8
        .size:           8
        .value_kind:     global_buffer
      - .actual_access:  read_only
        .address_space:  global
        .offset:         16
        .size:           8
        .value_kind:     global_buffer
      - .actual_access:  write_only
        .address_space:  global
        .offset:         24
        .size:           8
        .value_kind:     global_buffer
      - .actual_access:  write_only
        .address_space:  global
        .offset:         32
        .size:           8
        .value_kind:     global_buffer
      - .actual_access:  read_only
        .address_space:  global
        .offset:         40
        .size:           8
        .value_kind:     global_buffer
      - .offset:         48
        .size:           4
        .value_kind:     by_value
      - .offset:         52
        .size:           4
        .value_kind:     by_value
      - .offset:         56
        .size:           4
        .value_kind:     by_value
      - .offset:         60
        .size:           4
        .value_kind:     by_value
      - .offset:         64
        .size:           4
        .value_kind:     by_value
      - .offset:         72
        .size:           4
        .value_kind:     hidden_block_count_x
      - .offset:         76
        .size:           4
        .value_kind:     hidden_block_count_y
      - .offset:         80
        .size:           4
        .value_kind:     hidden_block_count_z
      - .offset:         84
        .size:           2
        .value_kind:     hidden_group_size_x
      - .offset:         86
        .size:           2
        .value_kind:     hidden_group_size_y
      - .offset:         88
        .size:           2
        .value_kind:     hidden_group_size_z
      - .offset:         90
        .size:           2
        .value_kind:     hidden_remainder_x
      - .offset:         92
        .size:           2
        .value_kind:     hidden_remainder_y
      - .offset:         94
        .size:           2
        .value_kind:     hidden_remainder_z
      - .offset:         112
        .size:           8
        .value_kind:     hidden_global_offset_x
      - .offset:         120
        .size:           8
        .value_kind:     hidden_global_offset_y
      - .offset:         128
        .size:           8
        .value_kind:     hidden_global_offset_z
      - .offset:         136
        .size:           2
        .value_kind:     hidden_grid_dims
    .group_segment_fixed_size: 1728
    .kernarg_segment_align: 8
    .kernarg_segment_size: 328
    .language:       OpenCL C
    .language_version:
      - 2
      - 0
    .max_flat_workgroup_size: 1024
    .name:           _Z18run_check_neighborPKdPKbS0_PdPbPKjiiijj
    .private_segment_fixed_size: 0
    .sgpr_count:     24
    .sgpr_spill_count: 0
    .symbol:         _Z18run_check_neighborPKdPKbS0_PdPbPKjiiijj.kd
    .uniform_work_group_size: 1
    .uses_dynamic_stack: false
    .vgpr_count:     24
    .vgpr_spill_count: 0
    .wavefront_size: 32
amdhsa.target:   amdgcn-amd-amdhsa--gfx1250
amdhsa.version:
  - 1
  - 2
...

	.end_amdgpu_metadata
